;; amdgpu-corpus repo=ROCm/rocFFT kind=compiled arch=gfx906 opt=O3
	.text
	.amdgcn_target "amdgcn-amd-amdhsa--gfx906"
	.amdhsa_code_object_version 6
	.protected	fft_rtc_back_len192_factors_6_4_4_2_wgs_128_tpt_16_halfLds_half_op_CI_CI_unitstride_sbrr_C2R_dirReg ; -- Begin function fft_rtc_back_len192_factors_6_4_4_2_wgs_128_tpt_16_halfLds_half_op_CI_CI_unitstride_sbrr_C2R_dirReg
	.globl	fft_rtc_back_len192_factors_6_4_4_2_wgs_128_tpt_16_halfLds_half_op_CI_CI_unitstride_sbrr_C2R_dirReg
	.p2align	8
	.type	fft_rtc_back_len192_factors_6_4_4_2_wgs_128_tpt_16_halfLds_half_op_CI_CI_unitstride_sbrr_C2R_dirReg,@function
fft_rtc_back_len192_factors_6_4_4_2_wgs_128_tpt_16_halfLds_half_op_CI_CI_unitstride_sbrr_C2R_dirReg: ; @fft_rtc_back_len192_factors_6_4_4_2_wgs_128_tpt_16_halfLds_half_op_CI_CI_unitstride_sbrr_C2R_dirReg
; %bb.0:
	s_load_dwordx4 s[8:11], s[4:5], 0x58
	s_load_dwordx4 s[12:15], s[4:5], 0x0
	;; [unrolled: 1-line block ×3, first 2 shown]
	v_lshrrev_b32_e32 v7, 4, v0
	v_mov_b32_e32 v5, 0
	v_mov_b32_e32 v8, 0
	s_waitcnt lgkmcnt(0)
	v_cmp_lt_u64_e64 s[0:1], s[14:15], 2
	v_lshl_or_b32 v10, s6, 3, v7
	v_mov_b32_e32 v11, v5
	s_and_b64 vcc, exec, s[0:1]
	v_mov_b32_e32 v9, 0
	s_cbranch_vccnz .LBB0_8
; %bb.1:
	s_load_dwordx2 s[0:1], s[4:5], 0x10
	s_add_u32 s2, s18, 8
	s_addc_u32 s3, s19, 0
	s_add_u32 s6, s16, 8
	s_addc_u32 s7, s17, 0
	v_mov_b32_e32 v8, 0
	s_waitcnt lgkmcnt(0)
	s_add_u32 s20, s0, 8
	v_mov_b32_e32 v9, 0
	v_mov_b32_e32 v1, v8
	s_addc_u32 s21, s1, 0
	s_mov_b64 s[22:23], 1
	v_mov_b32_e32 v2, v9
.LBB0_2:                                ; =>This Inner Loop Header: Depth=1
	s_load_dwordx2 s[24:25], s[20:21], 0x0
                                        ; implicit-def: $vgpr3_vgpr4
	s_waitcnt lgkmcnt(0)
	v_or_b32_e32 v6, s25, v11
	v_cmp_ne_u64_e32 vcc, 0, v[5:6]
	s_and_saveexec_b64 s[0:1], vcc
	s_xor_b64 s[26:27], exec, s[0:1]
	s_cbranch_execz .LBB0_4
; %bb.3:                                ;   in Loop: Header=BB0_2 Depth=1
	v_cvt_f32_u32_e32 v3, s24
	v_cvt_f32_u32_e32 v4, s25
	s_sub_u32 s0, 0, s24
	s_subb_u32 s1, 0, s25
	v_mac_f32_e32 v3, 0x4f800000, v4
	v_rcp_f32_e32 v3, v3
	v_mul_f32_e32 v3, 0x5f7ffffc, v3
	v_mul_f32_e32 v4, 0x2f800000, v3
	v_trunc_f32_e32 v4, v4
	v_mac_f32_e32 v3, 0xcf800000, v4
	v_cvt_u32_f32_e32 v4, v4
	v_cvt_u32_f32_e32 v3, v3
	v_mul_lo_u32 v6, s0, v4
	v_mul_hi_u32 v12, s0, v3
	v_mul_lo_u32 v14, s1, v3
	v_mul_lo_u32 v13, s0, v3
	v_add_u32_e32 v6, v12, v6
	v_add_u32_e32 v6, v6, v14
	v_mul_hi_u32 v12, v3, v13
	v_mul_lo_u32 v14, v3, v6
	v_mul_hi_u32 v16, v3, v6
	v_mul_hi_u32 v15, v4, v13
	v_mul_lo_u32 v13, v4, v13
	v_mul_hi_u32 v17, v4, v6
	v_add_co_u32_e32 v12, vcc, v12, v14
	v_addc_co_u32_e32 v14, vcc, 0, v16, vcc
	v_mul_lo_u32 v6, v4, v6
	v_add_co_u32_e32 v12, vcc, v12, v13
	v_addc_co_u32_e32 v12, vcc, v14, v15, vcc
	v_addc_co_u32_e32 v13, vcc, 0, v17, vcc
	v_add_co_u32_e32 v6, vcc, v12, v6
	v_addc_co_u32_e32 v12, vcc, 0, v13, vcc
	v_add_co_u32_e32 v3, vcc, v3, v6
	v_addc_co_u32_e32 v4, vcc, v4, v12, vcc
	v_mul_lo_u32 v6, s0, v4
	v_mul_hi_u32 v12, s0, v3
	v_mul_lo_u32 v13, s1, v3
	v_mul_lo_u32 v14, s0, v3
	v_add_u32_e32 v6, v12, v6
	v_add_u32_e32 v6, v6, v13
	v_mul_lo_u32 v15, v3, v6
	v_mul_hi_u32 v16, v3, v14
	v_mul_hi_u32 v17, v3, v6
	v_mul_hi_u32 v13, v4, v14
	v_mul_lo_u32 v14, v4, v14
	v_mul_hi_u32 v12, v4, v6
	v_add_co_u32_e32 v15, vcc, v16, v15
	v_addc_co_u32_e32 v16, vcc, 0, v17, vcc
	v_mul_lo_u32 v6, v4, v6
	v_add_co_u32_e32 v14, vcc, v15, v14
	v_addc_co_u32_e32 v13, vcc, v16, v13, vcc
	v_addc_co_u32_e32 v12, vcc, 0, v12, vcc
	v_add_co_u32_e32 v6, vcc, v13, v6
	v_addc_co_u32_e32 v12, vcc, 0, v12, vcc
	v_add_co_u32_e32 v6, vcc, v3, v6
	v_addc_co_u32_e32 v12, vcc, v4, v12, vcc
	v_mad_u64_u32 v[3:4], s[0:1], v10, v12, 0
	v_mul_hi_u32 v13, v10, v6
	v_add_co_u32_e32 v14, vcc, v13, v3
	v_addc_co_u32_e32 v15, vcc, 0, v4, vcc
	v_mad_u64_u32 v[3:4], s[0:1], v11, v6, 0
	v_mad_u64_u32 v[12:13], s[0:1], v11, v12, 0
	v_add_co_u32_e32 v3, vcc, v14, v3
	v_addc_co_u32_e32 v3, vcc, v15, v4, vcc
	v_addc_co_u32_e32 v4, vcc, 0, v13, vcc
	v_add_co_u32_e32 v6, vcc, v3, v12
	v_addc_co_u32_e32 v12, vcc, 0, v4, vcc
	v_mul_lo_u32 v13, s25, v6
	v_mul_lo_u32 v14, s24, v12
	v_mad_u64_u32 v[3:4], s[0:1], s24, v6, 0
	v_add3_u32 v4, v4, v14, v13
	v_sub_u32_e32 v13, v11, v4
	v_mov_b32_e32 v14, s25
	v_sub_co_u32_e32 v3, vcc, v10, v3
	v_subb_co_u32_e64 v13, s[0:1], v13, v14, vcc
	v_subrev_co_u32_e64 v14, s[0:1], s24, v3
	v_subbrev_co_u32_e64 v13, s[0:1], 0, v13, s[0:1]
	v_cmp_le_u32_e64 s[0:1], s25, v13
	v_cndmask_b32_e64 v15, 0, -1, s[0:1]
	v_cmp_le_u32_e64 s[0:1], s24, v14
	v_cndmask_b32_e64 v14, 0, -1, s[0:1]
	v_cmp_eq_u32_e64 s[0:1], s25, v13
	v_cndmask_b32_e64 v13, v15, v14, s[0:1]
	v_add_co_u32_e64 v14, s[0:1], 2, v6
	v_addc_co_u32_e64 v15, s[0:1], 0, v12, s[0:1]
	v_add_co_u32_e64 v16, s[0:1], 1, v6
	v_addc_co_u32_e64 v17, s[0:1], 0, v12, s[0:1]
	v_subb_co_u32_e32 v4, vcc, v11, v4, vcc
	v_cmp_ne_u32_e64 s[0:1], 0, v13
	v_cmp_le_u32_e32 vcc, s25, v4
	v_cndmask_b32_e64 v13, v17, v15, s[0:1]
	v_cndmask_b32_e64 v15, 0, -1, vcc
	v_cmp_le_u32_e32 vcc, s24, v3
	v_cndmask_b32_e64 v3, 0, -1, vcc
	v_cmp_eq_u32_e32 vcc, s25, v4
	v_cndmask_b32_e32 v3, v15, v3, vcc
	v_cmp_ne_u32_e32 vcc, 0, v3
	v_cndmask_b32_e64 v3, v16, v14, s[0:1]
	v_cndmask_b32_e32 v4, v12, v13, vcc
	v_cndmask_b32_e32 v3, v6, v3, vcc
.LBB0_4:                                ;   in Loop: Header=BB0_2 Depth=1
	s_andn2_saveexec_b64 s[0:1], s[26:27]
	s_cbranch_execz .LBB0_6
; %bb.5:                                ;   in Loop: Header=BB0_2 Depth=1
	v_cvt_f32_u32_e32 v3, s24
	s_sub_i32 s26, 0, s24
	v_rcp_iflag_f32_e32 v3, v3
	v_mul_f32_e32 v3, 0x4f7ffffe, v3
	v_cvt_u32_f32_e32 v3, v3
	v_mul_lo_u32 v4, s26, v3
	v_mul_hi_u32 v4, v3, v4
	v_add_u32_e32 v3, v3, v4
	v_mul_hi_u32 v3, v10, v3
	v_mul_lo_u32 v4, v3, s24
	v_add_u32_e32 v6, 1, v3
	v_sub_u32_e32 v4, v10, v4
	v_subrev_u32_e32 v12, s24, v4
	v_cmp_le_u32_e32 vcc, s24, v4
	v_cndmask_b32_e32 v4, v4, v12, vcc
	v_cndmask_b32_e32 v3, v3, v6, vcc
	v_add_u32_e32 v6, 1, v3
	v_cmp_le_u32_e32 vcc, s24, v4
	v_cndmask_b32_e32 v3, v3, v6, vcc
	v_mov_b32_e32 v4, v5
.LBB0_6:                                ;   in Loop: Header=BB0_2 Depth=1
	s_or_b64 exec, exec, s[0:1]
	v_mul_lo_u32 v6, v4, s24
	v_mul_lo_u32 v14, v3, s25
	v_mad_u64_u32 v[12:13], s[0:1], v3, s24, 0
	s_load_dwordx2 s[0:1], s[6:7], 0x0
	s_load_dwordx2 s[24:25], s[2:3], 0x0
	v_add3_u32 v6, v13, v14, v6
	v_sub_co_u32_e32 v10, vcc, v10, v12
	v_subb_co_u32_e32 v6, vcc, v11, v6, vcc
	s_waitcnt lgkmcnt(0)
	v_mul_lo_u32 v11, s0, v6
	v_mul_lo_u32 v12, s1, v10
	v_mad_u64_u32 v[8:9], s[0:1], s0, v10, v[8:9]
	s_add_u32 s22, s22, 1
	s_addc_u32 s23, s23, 0
	s_add_u32 s2, s2, 8
	v_mul_lo_u32 v6, s24, v6
	v_mul_lo_u32 v13, s25, v10
	v_mad_u64_u32 v[1:2], s[0:1], s24, v10, v[1:2]
	v_add3_u32 v9, v12, v9, v11
	s_addc_u32 s3, s3, 0
	v_mov_b32_e32 v10, s14
	s_add_u32 s6, s6, 8
	v_mov_b32_e32 v11, s15
	s_addc_u32 s7, s7, 0
	v_cmp_ge_u64_e32 vcc, s[22:23], v[10:11]
	s_add_u32 s20, s20, 8
	v_add3_u32 v2, v13, v2, v6
	s_addc_u32 s21, s21, 0
	s_cbranch_vccnz .LBB0_9
; %bb.7:                                ;   in Loop: Header=BB0_2 Depth=1
	v_mov_b32_e32 v11, v4
	v_mov_b32_e32 v10, v3
	s_branch .LBB0_2
.LBB0_8:
	v_mov_b32_e32 v1, v8
	v_mov_b32_e32 v3, v10
	;; [unrolled: 1-line block ×4, first 2 shown]
.LBB0_9:
	s_load_dwordx2 s[0:1], s[4:5], 0x28
	s_lshl_b64 s[6:7], s[14:15], 3
	s_add_u32 s2, s18, s6
	s_addc_u32 s3, s19, s7
	v_and_b32_e32 v5, 15, v0
	s_waitcnt lgkmcnt(0)
	v_cmp_gt_u64_e32 vcc, s[0:1], v[3:4]
	v_cmp_le_u64_e64 s[0:1], s[0:1], v[3:4]
                                        ; implicit-def: $vgpr10_vgpr11
	s_and_saveexec_b64 s[4:5], s[0:1]
	s_xor_b64 s[0:1], exec, s[4:5]
; %bb.10:
	v_mov_b32_e32 v6, 0
	v_and_b32_e32 v5, 15, v0
	v_mov_b32_e32 v11, v6
	v_mov_b32_e32 v10, v5
                                        ; implicit-def: $vgpr8_vgpr9
; %bb.11:
	s_or_saveexec_b64 s[4:5], s[0:1]
	s_load_dwordx2 s[2:3], s[2:3], 0x0
	v_mul_u32_u24_e32 v0, 0xc1, v7
	v_lshlrev_b32_e32 v12, 2, v0
                                        ; implicit-def: $vgpr7
	s_xor_b64 exec, exec, s[4:5]
	s_cbranch_execz .LBB0_15
; %bb.12:
	s_add_u32 s0, s16, s6
	s_addc_u32 s1, s17, s7
	s_load_dwordx2 s[0:1], s[0:1], 0x0
	v_mov_b32_e32 v13, s9
	v_lshlrev_b64 v[8:9], 2, v[8:9]
	s_waitcnt lgkmcnt(0)
	v_mul_lo_u32 v10, s1, v3
	v_mul_lo_u32 v11, s0, v4
	v_mad_u64_u32 v[6:7], s[0:1], s0, v3, 0
	v_add3_u32 v7, v7, v11, v10
	v_lshlrev_b64 v[6:7], 2, v[6:7]
	v_lshlrev_b32_e32 v11, 2, v5
	v_add_co_u32_e64 v6, s[0:1], s8, v6
	v_addc_co_u32_e64 v10, s[0:1], v13, v7, s[0:1]
	v_add_co_u32_e64 v7, s[0:1], v6, v8
	v_addc_co_u32_e64 v8, s[0:1], v10, v9, s[0:1]
	;; [unrolled: 2-line block ×3, first 2 shown]
	global_load_dword v13, v[9:10], off
	global_load_dword v14, v[9:10], off offset:64
	global_load_dword v15, v[9:10], off offset:128
	global_load_dword v16, v[9:10], off offset:192
	global_load_dword v17, v[9:10], off offset:256
	global_load_dword v18, v[9:10], off offset:320
	global_load_dword v19, v[9:10], off offset:384
	global_load_dword v20, v[9:10], off offset:448
	global_load_dword v21, v[9:10], off offset:512
	global_load_dword v22, v[9:10], off offset:576
	global_load_dword v23, v[9:10], off offset:640
	global_load_dword v24, v[9:10], off offset:704
	v_mov_b32_e32 v6, 0
	v_add3_u32 v9, 0, v12, v11
	v_mov_b32_e32 v11, v6
	v_cmp_eq_u32_e64 s[0:1], 15, v5
	v_mov_b32_e32 v10, v5
	s_waitcnt vmcnt(10)
	ds_write2_b32 v9, v13, v14 offset1:16
	s_waitcnt vmcnt(8)
	ds_write2_b32 v9, v15, v16 offset0:32 offset1:48
	s_waitcnt vmcnt(6)
	ds_write2_b32 v9, v17, v18 offset0:64 offset1:80
	;; [unrolled: 2-line block ×5, first 2 shown]
	s_and_saveexec_b64 s[6:7], s[0:1]
	s_cbranch_execz .LBB0_14
; %bb.13:
	global_load_dword v5, v[7:8], off offset:768
	v_mov_b32_e32 v10, 15
	v_mov_b32_e32 v11, 0
	s_waitcnt vmcnt(0)
	ds_write_b32 v9, v5 offset:708
	v_mov_b32_e32 v5, 15
.LBB0_14:
	s_or_b64 exec, exec, s[6:7]
	v_mov_b32_e32 v7, v5
.LBB0_15:
	s_or_b64 exec, exec, s[4:5]
	v_lshl_add_u32 v0, v0, 2, 0
	v_lshlrev_b32_e32 v14, 2, v5
	v_add_u32_e32 v13, v0, v14
	s_waitcnt lgkmcnt(0)
	s_barrier
	v_sub_u32_e32 v15, v0, v14
	ds_read_u16 v6, v13
	ds_read_u16 v18, v15 offset:768
	v_lshlrev_b64 v[8:9], 2, v[10:11]
	v_cmp_ne_u32_e64 s[0:1], 0, v5
	s_waitcnt lgkmcnt(0)
	v_add_f16_e32 v16, v18, v6
	v_sub_f16_e32 v17, v6, v18
	s_and_saveexec_b64 s[4:5], s[0:1]
	s_xor_b64 s[4:5], exec, s[4:5]
	s_cbranch_execz .LBB0_17
; %bb.16:
	v_mov_b32_e32 v11, s13
	v_add_co_u32_e64 v10, s[0:1], s12, v8
	v_addc_co_u32_e64 v11, s[0:1], v11, v9, s[0:1]
	global_load_dword v10, v[10:11], off offset:744
	ds_read_u16 v11, v15 offset:770
	ds_read_u16 v16, v13 offset:2
	v_add_f16_e32 v17, v18, v6
	v_sub_f16_e32 v6, v6, v18
	s_waitcnt lgkmcnt(0)
	v_add_f16_e32 v18, v11, v16
	v_sub_f16_e32 v11, v16, v11
	s_waitcnt vmcnt(0)
	v_lshrrev_b32_e32 v16, 16, v10
	v_fma_f16 v19, v6, v16, v17
	v_fma_f16 v20, v18, v16, v11
	v_fma_f16 v21, -v6, v16, v17
	v_fma_f16 v11, v18, v16, -v11
	v_fma_f16 v16, -v10, v18, v19
	v_fma_f16 v17, v6, v10, v20
	v_fma_f16 v18, v10, v18, v21
	;; [unrolled: 1-line block ×3, first 2 shown]
	v_pack_b32_f16 v6, v18, v6
	ds_write_b32 v15, v6 offset:768
.LBB0_17:
	s_andn2_saveexec_b64 s[0:1], s[4:5]
	s_cbranch_execz .LBB0_19
; %bb.18:
	ds_read_b32 v6, v0 offset:384
	s_mov_b32 s4, 0xc0004000
	s_waitcnt lgkmcnt(0)
	v_pk_mul_f16 v6, v6, s4
	ds_write_b32 v0, v6 offset:384
.LBB0_19:
	s_or_b64 exec, exec, s[0:1]
	v_mov_b32_e32 v6, 0
	s_add_u32 s0, s12, 0x2e8
	v_lshlrev_b64 v[10:11], 2, v[5:6]
	s_addc_u32 s1, s13, 0
	v_mov_b32_e32 v19, s1
	v_add_co_u32_e64 v18, s[0:1], s0, v10
	v_addc_co_u32_e64 v19, s[0:1], v19, v11, s[0:1]
	global_load_dword v20, v[18:19], off offset:64
	global_load_dword v21, v[18:19], off offset:128
	;; [unrolled: 1-line block ×4, first 2 shown]
	s_mov_b32 s0, 0x5040100
	v_perm_b32 v16, v17, v16, s0
	ds_write_b32 v13, v16
	ds_read_b32 v16, v13 offset:64
	ds_read_b32 v17, v15 offset:704
	global_load_dword v18, v[18:19], off offset:320
	v_add3_u32 v14, 0, v14, v12
	s_movk_i32 s0, 0x3aee
	s_mov_b32 s1, 0xb8003800
	s_waitcnt lgkmcnt(0)
	v_add_f16_e32 v19, v16, v17
	v_add_f16_sdwa v24, v17, v16 dst_sel:DWORD dst_unused:UNUSED_PAD src0_sel:WORD_1 src1_sel:WORD_1
	v_sub_f16_e32 v25, v16, v17
	v_sub_f16_sdwa v16, v16, v17 dst_sel:DWORD dst_unused:UNUSED_PAD src0_sel:WORD_1 src1_sel:WORD_1
	s_mov_b32 s4, 0xffff
	v_mov_b32_e32 v34, 2
	s_waitcnt vmcnt(4)
	v_lshrrev_b32_e32 v17, 16, v20
	v_fma_f16 v26, v25, v17, v19
	v_fma_f16 v27, v24, v17, v16
	v_fma_f16 v19, -v25, v17, v19
	v_fma_f16 v16, v24, v17, -v16
	v_fma_f16 v17, -v20, v24, v26
	v_fma_f16 v26, v25, v20, v27
	v_fma_f16 v19, v20, v24, v19
	v_fma_f16 v16, v25, v20, v16
	v_pack_b32_f16 v17, v17, v26
	v_pack_b32_f16 v16, v19, v16
	ds_write_b32 v13, v17 offset:64
	ds_write_b32 v15, v16 offset:704
	ds_read_b32 v16, v13 offset:128
	ds_read_b32 v17, v15 offset:640
	s_waitcnt vmcnt(3)
	v_lshrrev_b32_e32 v19, 16, v21
	s_waitcnt lgkmcnt(0)
	v_add_f16_e32 v20, v16, v17
	v_add_f16_sdwa v24, v17, v16 dst_sel:DWORD dst_unused:UNUSED_PAD src0_sel:WORD_1 src1_sel:WORD_1
	v_sub_f16_e32 v25, v16, v17
	v_sub_f16_sdwa v16, v16, v17 dst_sel:DWORD dst_unused:UNUSED_PAD src0_sel:WORD_1 src1_sel:WORD_1
	v_fma_f16 v17, v25, v19, v20
	v_fma_f16 v26, v24, v19, v16
	v_fma_f16 v20, -v25, v19, v20
	v_fma_f16 v16, v24, v19, -v16
	v_fma_f16 v17, -v21, v24, v17
	v_fma_f16 v19, v25, v21, v26
	v_fma_f16 v20, v21, v24, v20
	v_fma_f16 v16, v25, v21, v16
	v_pack_b32_f16 v17, v17, v19
	v_pack_b32_f16 v16, v20, v16
	ds_write_b32 v13, v17 offset:128
	ds_write_b32 v15, v16 offset:640
	ds_read_b32 v16, v13 offset:192
	ds_read_b32 v17, v15 offset:576
	s_waitcnt vmcnt(2)
	v_lshrrev_b32_e32 v19, 16, v22
	s_waitcnt lgkmcnt(0)
	v_add_f16_e32 v20, v16, v17
	v_add_f16_sdwa v21, v17, v16 dst_sel:DWORD dst_unused:UNUSED_PAD src0_sel:WORD_1 src1_sel:WORD_1
	v_sub_f16_e32 v24, v16, v17
	v_sub_f16_sdwa v16, v16, v17 dst_sel:DWORD dst_unused:UNUSED_PAD src0_sel:WORD_1 src1_sel:WORD_1
	;; [unrolled: 21-line block ×4, first 2 shown]
	v_fma_f16 v17, v22, v19, v20
	v_fma_f16 v23, v21, v19, v16
	v_fma_f16 v20, -v22, v19, v20
	v_fma_f16 v16, v21, v19, -v16
	v_fma_f16 v17, -v18, v21, v17
	v_fma_f16 v19, v22, v18, v23
	v_fma_f16 v20, v18, v21, v20
	;; [unrolled: 1-line block ×3, first 2 shown]
	v_pack_b32_f16 v17, v17, v19
	v_pack_b32_f16 v16, v20, v16
	ds_write_b32 v13, v17 offset:320
	ds_write_b32 v15, v16 offset:448
	s_waitcnt lgkmcnt(0)
	s_barrier
	s_barrier
	ds_read2_b32 v[15:16], v14 offset0:48 offset1:64
	ds_read2_b32 v[17:18], v14 offset0:112 offset1:128
	ds_read_b32 v25, v13
	ds_read2_b32 v[19:20], v14 offset0:80 offset1:96
	ds_read2_b32 v[21:22], v14 offset0:144 offset1:160
	;; [unrolled: 1-line block ×3, first 2 shown]
	ds_read_b32 v26, v14 offset:704
	s_waitcnt lgkmcnt(4)
	v_pk_add_f16 v27, v25, v16
	v_pk_add_f16 v28, v16, v18
	s_waitcnt lgkmcnt(2)
	v_pk_add_f16 v29, v20, v22
	v_pk_add_f16 v16, v16, v18 neg_lo:[0,1] neg_hi:[0,1]
	v_pk_add_f16 v30, v20, v22 neg_lo:[0,1] neg_hi:[0,1]
	v_pk_add_f16 v18, v27, v18
	v_pk_fma_f16 v25, v28, 0.5, v25 op_sel_hi:[1,0,1] neg_lo:[1,0,0] neg_hi:[1,0,0]
	s_waitcnt lgkmcnt(1)
	v_pk_fma_f16 v27, v29, 0.5, v24 op_sel_hi:[1,0,1] neg_lo:[1,0,0] neg_hi:[1,0,0]
	v_pk_fma_f16 v28, v16, s0, v25 op_sel:[0,0,1] op_sel_hi:[1,0,0] neg_lo:[1,0,0] neg_hi:[1,0,0]
	v_pk_fma_f16 v16, v16, s0, v25 op_sel:[0,0,1] op_sel_hi:[1,0,0]
	v_pk_fma_f16 v25, v30, s0, v27 op_sel:[0,0,1] op_sel_hi:[1,0,0]
	v_pk_fma_f16 v27, v30, s0, v27 op_sel:[0,0,1] op_sel_hi:[1,0,0] neg_lo:[1,0,0] neg_hi:[1,0,0]
	v_lshrrev_b32_e32 v29, 16, v27
	v_mul_f16_e32 v30, 0x3aee, v25
	v_fma_f16 v29, v29, 0.5, -v30
	v_pk_mul_f16 v30, v27, s0 op_sel_hi:[1,0]
	v_pk_add_f16 v20, v24, v20
	v_pk_fma_f16 v31, v25, s1, v30 op_sel:[0,0,1] op_sel_hi:[1,1,0]
	v_pk_fma_f16 v30, v25, s1, v30 op_sel:[0,0,1] op_sel_hi:[1,1,0] neg_lo:[0,0,1] neg_hi:[0,0,1]
	v_lshrrev_b32_e32 v25, 16, v25
	v_mul_f16_e32 v27, -0.5, v27
	v_pk_add_f16 v20, v20, v22
	v_fma_f16 v25, v25, s0, v27
	v_pk_add_f16 v22, v18, v20
	v_pk_add_f16 v18, v18, v20 neg_lo:[0,1] neg_hi:[0,1]
	v_alignbit_b32 v20, v16, v28, 16
	v_pack_b32_f16 v24, v29, v31
	v_bfi_b32 v27, s4, v31, v30
	v_pk_add_f16 v20, v20, v24 neg_lo:[0,1] neg_hi:[0,1]
	v_add_f16_sdwa v24, v28, v29 dst_sel:DWORD dst_unused:UNUSED_PAD src0_sel:WORD_1 src1_sel:DWORD
	v_pk_add_f16 v27, v16, v27
	v_alignbit_b32 v16, v28, v16, 16
	v_add_f16_e32 v28, v28, v25
	v_alignbit_b32 v25, v25, v30, 16
	v_pk_add_f16 v16, v16, v25 neg_lo:[0,1] neg_hi:[0,1]
	v_mad_u32_u24 v29, v5, 20, v14
	v_alignbit_b32 v25, v28, v27, 16
	v_pack_b32_f16 v24, v24, v27
	s_waitcnt lgkmcnt(0)
	s_barrier
	ds_write2_b32 v29, v24, v25 offset0:1 offset1:2
	ds_write2_b32 v29, v18, v20 offset0:3 offset1:4
	ds_write2_b32 v29, v22, v16 offset1:5
	v_pk_add_f16 v16, v19, v21
	v_pk_fma_f16 v16, v16, 0.5, v23 op_sel_hi:[1,0,1] neg_lo:[1,0,0] neg_hi:[1,0,0]
	v_pk_add_f16 v18, v19, v21 neg_lo:[0,1] neg_hi:[0,1]
	v_pk_add_f16 v27, v23, v19
	v_pk_fma_f16 v19, v18, s0, v16 op_sel:[0,0,1] op_sel_hi:[1,0,0] neg_lo:[1,0,0] neg_hi:[1,0,0]
	v_pk_fma_f16 v16, v18, s0, v16 op_sel:[0,0,1] op_sel_hi:[1,0,0]
	v_pk_add_f16 v18, v17, v26
	v_pk_add_f16 v24, v15, v17
	v_pk_fma_f16 v15, v18, 0.5, v15 op_sel_hi:[1,0,1] neg_lo:[1,0,0] neg_hi:[1,0,0]
	v_pk_add_f16 v17, v17, v26 neg_lo:[0,1] neg_hi:[0,1]
	v_pk_fma_f16 v18, v17, s0, v15 op_sel:[0,0,1] op_sel_hi:[1,0,0]
	v_pk_fma_f16 v15, v17, s0, v15 op_sel:[0,0,1] op_sel_hi:[1,0,0] neg_lo:[1,0,0] neg_hi:[1,0,0]
	v_pk_add_f16 v27, v27, v21
	v_pk_mul_f16 v21, v15, s0 op_sel_hi:[1,0]
	v_lshrrev_b32_e32 v17, 16, v15
	v_mul_f16_e32 v20, 0x3aee, v18
	v_pk_fma_f16 v22, v18, s1, v21 op_sel:[0,0,1] op_sel_hi:[1,1,0]
	v_pk_fma_f16 v21, v18, s1, v21 op_sel:[0,0,1] op_sel_hi:[1,1,0] neg_lo:[0,0,1] neg_hi:[0,0,1]
	v_lshrrev_b32_e32 v18, 16, v18
	v_mul_f16_e32 v15, -0.5, v15
	v_fma_f16 v17, v17, 0.5, -v20
	v_bfi_b32 v23, s4, v22, v21
	v_fma_f16 v15, v18, s0, v15
	v_add_f16_sdwa v20, v19, v17 dst_sel:DWORD dst_unused:UNUSED_PAD src0_sel:WORD_1 src1_sel:DWORD
	v_pk_add_f16 v23, v16, v23
	v_add_f16_e32 v18, v19, v15
	v_alignbit_b32 v18, v18, v23, 16
	v_pack_b32_f16 v20, v20, v23
	v_pk_add_f16 v24, v24, v26
	ds_write2_b32 v29, v20, v18 offset0:97 offset1:98
	v_alignbit_b32 v20, v16, v19, 16
	v_alignbit_b32 v16, v19, v16, 16
	;; [unrolled: 1-line block ×3, first 2 shown]
	v_pk_add_f16 v25, v27, v24
	v_pk_add_f16 v15, v16, v15 neg_lo:[0,1] neg_hi:[0,1]
	s_movk_i32 s0, 0xab
	ds_write2_b32 v29, v25, v15 offset0:96 offset1:101
	v_mul_lo_u16_sdwa v15, v5, s0 dst_sel:DWORD dst_unused:UNUSED_PAD src0_sel:BYTE_0 src1_sel:DWORD
	v_lshrrev_b16_e32 v32, 10, v15
	v_mul_lo_u16_e32 v15, 6, v32
	v_sub_u16_e32 v33, v5, v15
	v_pack_b32_f16 v17, v17, v22
	v_mul_lo_u16_e32 v15, 3, v33
	v_pk_add_f16 v18, v27, v24 neg_lo:[0,1] neg_hi:[0,1]
	v_pk_add_f16 v17, v20, v17 neg_lo:[0,1] neg_hi:[0,1]
	v_lshlrev_b32_sdwa v15, v34, v15 dst_sel:DWORD dst_unused:UNUSED_PAD src0_sel:DWORD src1_sel:BYTE_0
	ds_write2_b32 v29, v18, v17 offset0:99 offset1:100
	s_waitcnt lgkmcnt(0)
	s_barrier
	global_load_dwordx3 v[17:19], v15, s[12:13]
	v_or_b32_e32 v16, 16, v5
	v_mul_lo_u16_sdwa v15, v16, s0 dst_sel:DWORD dst_unused:UNUSED_PAD src0_sel:BYTE_0 src1_sel:DWORD
	v_lshrrev_b16_e32 v35, 10, v15
	v_mul_lo_u16_e32 v15, 6, v35
	v_sub_u16_e32 v36, v16, v15
	v_mul_lo_u16_e32 v15, 3, v36
	v_lshlrev_b32_sdwa v15, v34, v15 dst_sel:DWORD dst_unused:UNUSED_PAD src0_sel:DWORD src1_sel:BYTE_0
	global_load_dwordx3 v[20:22], v15, s[12:13]
	v_or_b32_e32 v15, 32, v5
	v_mul_lo_u16_sdwa v23, v15, s0 dst_sel:DWORD dst_unused:UNUSED_PAD src0_sel:BYTE_0 src1_sel:DWORD
	v_lshrrev_b16_e32 v37, 10, v23
	v_mul_lo_u16_e32 v23, 6, v37
	v_sub_u16_e32 v38, v15, v23
	v_mul_lo_u16_e32 v15, 3, v38
	v_lshlrev_b32_sdwa v15, v34, v15 dst_sel:DWORD dst_unused:UNUSED_PAD src0_sel:DWORD src1_sel:BYTE_0
	global_load_dwordx3 v[23:25], v15, s[12:13]
	s_movk_i32 s0, 0xffec
	v_mad_i32_i24 v15, v5, s0, v29
	ds_read2_b32 v[26:27], v15 offset0:48 offset1:64
	ds_read2_b32 v[28:29], v14 offset0:96 offset1:112
	ds_read_b32 v43, v15 offset:320
	v_cmp_gt_u32_e64 s[0:1], 24, v16
	s_waitcnt lgkmcnt(2)
	v_lshrrev_b32_e32 v30, 16, v26
	s_waitcnt vmcnt(2)
	v_mul_f16_sdwa v31, v17, v26 dst_sel:DWORD dst_unused:UNUSED_PAD src0_sel:WORD_1 src1_sel:DWORD
	v_fma_f16 v39, v17, v30, -v31
	v_mul_f16_sdwa v30, v17, v30 dst_sel:DWORD dst_unused:UNUSED_PAD src0_sel:WORD_1 src1_sel:DWORD
	v_fma_f16 v26, v17, v26, v30
	ds_read2_b32 v[30:31], v14 offset0:128 offset1:144
	s_waitcnt lgkmcnt(2)
	v_lshrrev_b32_e32 v17, 16, v28
	v_mul_f16_sdwa v40, v18, v28 dst_sel:DWORD dst_unused:UNUSED_PAD src0_sel:WORD_1 src1_sel:DWORD
	v_fma_f16 v40, v18, v17, -v40
	v_mul_f16_sdwa v17, v18, v17 dst_sel:DWORD dst_unused:UNUSED_PAD src0_sel:WORD_1 src1_sel:DWORD
	v_fma_f16 v28, v18, v28, v17
	s_waitcnt lgkmcnt(0)
	v_lshrrev_b32_e32 v17, 16, v31
	v_mul_f16_sdwa v18, v19, v31 dst_sel:DWORD dst_unused:UNUSED_PAD src0_sel:WORD_1 src1_sel:DWORD
	v_fma_f16 v41, v19, v17, -v18
	v_mul_f16_sdwa v17, v19, v17 dst_sel:DWORD dst_unused:UNUSED_PAD src0_sel:WORD_1 src1_sel:DWORD
	v_fma_f16 v19, v19, v31, v17
	v_lshrrev_b32_e32 v17, 16, v27
	s_waitcnt vmcnt(1)
	v_mul_f16_sdwa v18, v20, v17 dst_sel:DWORD dst_unused:UNUSED_PAD src0_sel:WORD_1 src1_sel:DWORD
	v_fma_f16 v31, v20, v27, v18
	v_mul_f16_sdwa v18, v20, v27 dst_sel:DWORD dst_unused:UNUSED_PAD src0_sel:WORD_1 src1_sel:DWORD
	v_fma_f16 v20, v20, v17, -v18
	ds_read2_b32 v[17:18], v14 offset0:160 offset1:176
	v_lshrrev_b32_e32 v27, 16, v29
	v_mul_f16_sdwa v42, v27, v21 dst_sel:DWORD dst_unused:UNUSED_PAD src0_sel:DWORD src1_sel:WORD_1
	v_fma_f16 v42, v29, v21, v42
	v_mul_f16_sdwa v29, v29, v21 dst_sel:DWORD dst_unused:UNUSED_PAD src0_sel:DWORD src1_sel:WORD_1
	v_fma_f16 v21, v27, v21, -v29
	s_waitcnt lgkmcnt(0)
	v_lshrrev_b32_e32 v27, 16, v17
	v_mul_f16_sdwa v29, v17, v22 dst_sel:DWORD dst_unused:UNUSED_PAD src0_sel:DWORD src1_sel:WORD_1
	v_fma_f16 v29, v27, v22, -v29
	v_mul_f16_sdwa v27, v27, v22 dst_sel:DWORD dst_unused:UNUSED_PAD src0_sel:DWORD src1_sel:WORD_1
	v_fma_f16 v22, v17, v22, v27
	ds_read_b32 v17, v13
	v_lshrrev_b32_e32 v27, 16, v43
	s_waitcnt vmcnt(0)
	v_mul_f16_sdwa v44, v27, v23 dst_sel:DWORD dst_unused:UNUSED_PAD src0_sel:DWORD src1_sel:WORD_1
	v_fma_f16 v44, v43, v23, v44
	v_mul_f16_sdwa v43, v43, v23 dst_sel:DWORD dst_unused:UNUSED_PAD src0_sel:DWORD src1_sel:WORD_1
	v_fma_f16 v23, v27, v23, -v43
	v_lshrrev_b32_e32 v27, 16, v30
	v_mul_f16_sdwa v43, v27, v24 dst_sel:DWORD dst_unused:UNUSED_PAD src0_sel:DWORD src1_sel:WORD_1
	v_fma_f16 v43, v30, v24, v43
	v_mul_f16_sdwa v30, v30, v24 dst_sel:DWORD dst_unused:UNUSED_PAD src0_sel:DWORD src1_sel:WORD_1
	v_fma_f16 v24, v27, v24, -v30
	v_lshrrev_b32_e32 v27, 16, v18
	v_mul_f16_sdwa v30, v27, v25 dst_sel:DWORD dst_unused:UNUSED_PAD src0_sel:DWORD src1_sel:WORD_1
	v_fma_f16 v30, v18, v25, v30
	v_mul_f16_sdwa v18, v18, v25 dst_sel:DWORD dst_unused:UNUSED_PAD src0_sel:DWORD src1_sel:WORD_1
	v_fma_f16 v25, v27, v25, -v18
	v_mul_lo_u16_e32 v18, 24, v32
	v_or_b32_e32 v27, v18, v33
	s_waitcnt lgkmcnt(0)
	v_sub_f16_e32 v18, v17, v28
	v_lshrrev_b32_e32 v28, 16, v17
	v_sub_f16_e32 v32, v28, v40
	v_sub_f16_e32 v19, v26, v19
	;; [unrolled: 1-line block ×3, first 2 shown]
	v_fma_f16 v17, v17, 2.0, -v18
	v_fma_f16 v28, v28, 2.0, -v32
	;; [unrolled: 1-line block ×4, first 2 shown]
	v_sub_f16_e32 v26, v17, v26
	v_sub_f16_e32 v39, v28, v39
	v_fma_f16 v17, v17, 2.0, -v26
	v_fma_f16 v28, v28, 2.0, -v39
	v_add_f16_e32 v33, v18, v33
	v_sub_f16_e32 v19, v32, v19
	v_pack_b32_f16 v28, v17, v28
	v_fma_f16 v17, v18, 2.0, -v33
	v_fma_f16 v18, v32, 2.0, -v19
	v_pack_b32_f16 v32, v17, v18
	ds_read2_b32 v[17:18], v15 offset0:16 offset1:32
	v_lshlrev_b32_sdwa v27, v34, v27 dst_sel:DWORD dst_unused:UNUSED_PAD src0_sel:DWORD src1_sel:BYTE_0
	v_add3_u32 v27, 0, v27, v12
	v_pack_b32_f16 v26, v26, v39
	v_pack_b32_f16 v19, v33, v19
	s_waitcnt lgkmcnt(0)
	s_barrier
	ds_write2_b32 v27, v28, v32 offset1:6
	ds_write2_b32 v27, v26, v19 offset0:12 offset1:18
	v_lshrrev_b32_e32 v27, 16, v17
	v_sub_f16_e32 v26, v17, v42
	v_sub_f16_e32 v21, v27, v21
	;; [unrolled: 1-line block ×4, first 2 shown]
	v_fma_f16 v27, v27, 2.0, -v21
	v_fma_f16 v29, v31, 2.0, -v22
	;; [unrolled: 1-line block ×4, first 2 shown]
	v_sub_f16_e32 v29, v17, v29
	v_sub_f16_e32 v20, v27, v20
	v_mul_lo_u16_e32 v19, 24, v35
	v_fma_f16 v17, v17, 2.0, -v29
	v_fma_f16 v27, v27, 2.0, -v20
	v_or_b32_e32 v19, v19, v36
	v_pack_b32_f16 v17, v17, v27
	v_add_f16_e32 v27, v26, v28
	v_sub_f16_e32 v22, v21, v22
	v_fma_f16 v26, v26, 2.0, -v27
	v_fma_f16 v21, v21, 2.0, -v22
	v_lshlrev_b32_sdwa v19, v34, v19 dst_sel:DWORD dst_unused:UNUSED_PAD src0_sel:DWORD src1_sel:BYTE_0
	v_pack_b32_f16 v21, v26, v21
	v_add3_u32 v19, 0, v19, v12
	ds_write2_b32 v19, v17, v21 offset1:6
	v_lshrrev_b32_e32 v17, 16, v18
	v_sub_f16_e32 v21, v18, v43
	v_sub_f16_e32 v24, v17, v24
	;; [unrolled: 1-line block ×4, first 2 shown]
	v_pack_b32_f16 v20, v29, v20
	v_pack_b32_f16 v22, v27, v22
	v_fma_f16 v18, v18, 2.0, -v21
	v_fma_f16 v17, v17, 2.0, -v24
	;; [unrolled: 1-line block ×4, first 2 shown]
	ds_write2_b32 v19, v20, v22 offset0:12 offset1:18
	v_mul_lo_u16_e32 v19, 24, v37
	v_sub_f16_e32 v28, v18, v28
	v_sub_f16_e32 v23, v17, v23
	v_add_f16_e32 v25, v21, v25
	v_sub_f16_e32 v26, v24, v26
	v_or_b32_e32 v19, v19, v38
	v_fma_f16 v18, v18, 2.0, -v28
	v_fma_f16 v17, v17, 2.0, -v23
	;; [unrolled: 1-line block ×4, first 2 shown]
	v_lshlrev_b32_sdwa v19, v34, v19 dst_sel:DWORD dst_unused:UNUSED_PAD src0_sel:DWORD src1_sel:BYTE_0
	v_add3_u32 v19, 0, v19, v12
	v_pack_b32_f16 v17, v18, v17
	v_pack_b32_f16 v18, v21, v24
	ds_write2_b32 v19, v17, v18 offset1:6
	v_pack_b32_f16 v17, v28, v23
	v_pack_b32_f16 v18, v25, v26
	ds_write2_b32 v19, v17, v18 offset0:12 offset1:18
	v_mul_u32_u24_e32 v17, 3, v5
	v_lshlrev_b32_e32 v28, 2, v17
	s_waitcnt lgkmcnt(0)
	s_barrier
	global_load_dwordx3 v[17:19], v28, s[12:13] offset:72
	v_add_u32_e32 v5, -8, v5
	v_cndmask_b32_e64 v32, v5, v16, s[0:1]
	v_mul_i32_i24_e32 v5, 3, v32
	v_lshlrev_b64 v[20:21], 2, v[5:6]
	v_mov_b32_e32 v22, s13
	v_add_co_u32_e64 v26, s[0:1], s12, v20
	v_addc_co_u32_e64 v27, s[0:1], v22, v21, s[0:1]
	global_load_dwordx3 v[20:22], v[26:27], off offset:72
	global_load_dwordx3 v[23:25], v28, s[12:13] offset:168
	ds_read2_b32 v[26:27], v15 offset0:48 offset1:64
	ds_read2_b32 v[28:29], v14 offset0:96 offset1:112
	;; [unrolled: 1-line block ×3, first 2 shown]
	ds_read_b32 v36, v15 offset:320
	v_cmp_lt_u32_e64 s[0:1], 23, v16
	s_waitcnt lgkmcnt(3)
	v_lshrrev_b32_e32 v5, 16, v26
	s_waitcnt vmcnt(2)
	v_mul_f16_sdwa v33, v17, v5 dst_sel:DWORD dst_unused:UNUSED_PAD src0_sel:WORD_1 src1_sel:DWORD
	v_fma_f16 v33, v17, v26, v33
	v_mul_f16_sdwa v26, v17, v26 dst_sel:DWORD dst_unused:UNUSED_PAD src0_sel:WORD_1 src1_sel:DWORD
	v_fma_f16 v5, v17, v5, -v26
	s_waitcnt lgkmcnt(2)
	v_lshrrev_b32_e32 v17, 16, v28
	v_mul_f16_sdwa v26, v18, v17 dst_sel:DWORD dst_unused:UNUSED_PAD src0_sel:WORD_1 src1_sel:DWORD
	v_fma_f16 v26, v18, v28, v26
	v_mul_f16_sdwa v28, v18, v28 dst_sel:DWORD dst_unused:UNUSED_PAD src0_sel:WORD_1 src1_sel:DWORD
	v_fma_f16 v28, v18, v17, -v28
	s_waitcnt lgkmcnt(1)
	v_lshrrev_b32_e32 v17, 16, v31
	v_mul_f16_sdwa v18, v19, v31 dst_sel:DWORD dst_unused:UNUSED_PAD src0_sel:WORD_1 src1_sel:DWORD
	v_fma_f16 v34, v19, v17, -v18
	v_mul_f16_sdwa v17, v19, v17 dst_sel:DWORD dst_unused:UNUSED_PAD src0_sel:WORD_1 src1_sel:DWORD
	v_fma_f16 v19, v19, v31, v17
	v_lshrrev_b32_e32 v17, 16, v27
	s_waitcnt vmcnt(1)
	v_mul_f16_sdwa v18, v20, v17 dst_sel:DWORD dst_unused:UNUSED_PAD src0_sel:WORD_1 src1_sel:DWORD
	v_fma_f16 v31, v20, v27, v18
	v_mul_f16_sdwa v18, v20, v27 dst_sel:DWORD dst_unused:UNUSED_PAD src0_sel:WORD_1 src1_sel:DWORD
	v_fma_f16 v20, v20, v17, -v18
	ds_read2_b32 v[17:18], v14 offset0:160 offset1:176
	v_lshrrev_b32_e32 v27, 16, v29
	v_mul_f16_sdwa v35, v21, v27 dst_sel:DWORD dst_unused:UNUSED_PAD src0_sel:WORD_1 src1_sel:DWORD
	v_fma_f16 v35, v21, v29, v35
	v_mul_f16_sdwa v29, v21, v29 dst_sel:DWORD dst_unused:UNUSED_PAD src0_sel:WORD_1 src1_sel:DWORD
	v_fma_f16 v21, v21, v27, -v29
	s_waitcnt lgkmcnt(0)
	v_lshrrev_b32_e32 v27, 16, v17
	v_mul_f16_sdwa v29, v17, v22 dst_sel:DWORD dst_unused:UNUSED_PAD src0_sel:DWORD src1_sel:WORD_1
	v_fma_f16 v29, v27, v22, -v29
	v_mul_f16_sdwa v27, v27, v22 dst_sel:DWORD dst_unused:UNUSED_PAD src0_sel:DWORD src1_sel:WORD_1
	v_fma_f16 v22, v17, v22, v27
	ds_read_b32 v17, v13
	v_lshrrev_b32_e32 v27, 16, v36
	s_waitcnt vmcnt(0)
	v_mul_f16_sdwa v37, v27, v23 dst_sel:DWORD dst_unused:UNUSED_PAD src0_sel:DWORD src1_sel:WORD_1
	v_fma_f16 v37, v36, v23, v37
	v_mul_f16_sdwa v36, v36, v23 dst_sel:DWORD dst_unused:UNUSED_PAD src0_sel:DWORD src1_sel:WORD_1
	v_fma_f16 v23, v27, v23, -v36
	v_lshrrev_b32_e32 v27, 16, v30
	v_mul_f16_sdwa v36, v27, v24 dst_sel:DWORD dst_unused:UNUSED_PAD src0_sel:DWORD src1_sel:WORD_1
	v_fma_f16 v36, v30, v24, v36
	v_mul_f16_sdwa v30, v30, v24 dst_sel:DWORD dst_unused:UNUSED_PAD src0_sel:DWORD src1_sel:WORD_1
	v_fma_f16 v24, v27, v24, -v30
	v_lshrrev_b32_e32 v27, 16, v18
	v_mul_f16_sdwa v30, v27, v25 dst_sel:DWORD dst_unused:UNUSED_PAD src0_sel:DWORD src1_sel:WORD_1
	v_fma_f16 v30, v18, v25, v30
	v_mul_f16_sdwa v18, v18, v25 dst_sel:DWORD dst_unused:UNUSED_PAD src0_sel:DWORD src1_sel:WORD_1
	v_fma_f16 v25, v27, v25, -v18
	s_waitcnt lgkmcnt(0)
	v_sub_f16_e32 v18, v17, v26
	v_lshrrev_b32_e32 v26, 16, v17
	v_sub_f16_e32 v27, v26, v28
	v_sub_f16_e32 v19, v33, v19
	;; [unrolled: 1-line block ×3, first 2 shown]
	v_fma_f16 v17, v17, 2.0, -v18
	v_fma_f16 v26, v26, 2.0, -v27
	;; [unrolled: 1-line block ×4, first 2 shown]
	v_sub_f16_e32 v33, v17, v33
	v_sub_f16_e32 v5, v26, v5
	v_fma_f16 v17, v17, 2.0, -v33
	v_fma_f16 v26, v26, 2.0, -v5
	v_add_f16_e32 v28, v18, v28
	v_sub_f16_e32 v19, v27, v19
	v_pack_b32_f16 v26, v17, v26
	v_fma_f16 v17, v18, 2.0, -v28
	v_fma_f16 v18, v27, 2.0, -v19
	v_pack_b32_f16 v27, v17, v18
	ds_read2_b32 v[17:18], v15 offset0:16 offset1:32
	v_pack_b32_f16 v5, v33, v5
	v_pack_b32_f16 v19, v28, v19
	s_waitcnt lgkmcnt(0)
	s_barrier
	ds_write2_b32 v14, v5, v19 offset0:48 offset1:72
	v_lshrrev_b32_e32 v5, 16, v17
	v_sub_f16_e32 v19, v17, v35
	v_mov_b32_e32 v28, 0x60
	v_sub_f16_e32 v21, v5, v21
	v_sub_f16_e32 v22, v31, v22
	;; [unrolled: 1-line block ×3, first 2 shown]
	v_fma_f16 v17, v17, 2.0, -v19
	v_fma_f16 v5, v5, 2.0, -v21
	;; [unrolled: 1-line block ×4, first 2 shown]
	v_cndmask_b32_e64 v16, 0, v28, s[0:1]
	ds_write2_b32 v14, v26, v27 offset1:24
	v_lshrrev_b32_e32 v27, 16, v18
	v_sub_f16_e32 v31, v17, v31
	v_sub_f16_e32 v20, v5, v20
	v_add_f16_e32 v29, v19, v29
	v_sub_f16_e32 v22, v21, v22
	v_or_b32_e32 v16, v16, v32
	v_sub_f16_e32 v26, v18, v36
	v_fma_f16 v17, v17, 2.0, -v31
	v_fma_f16 v5, v5, 2.0, -v20
	;; [unrolled: 1-line block ×4, first 2 shown]
	v_sub_f16_e32 v24, v27, v24
	v_sub_f16_e32 v30, v37, v30
	;; [unrolled: 1-line block ×3, first 2 shown]
	v_lshlrev_b32_e32 v16, 2, v16
	v_fma_f16 v18, v18, 2.0, -v26
	v_fma_f16 v27, v27, 2.0, -v24
	;; [unrolled: 1-line block ×4, first 2 shown]
	v_add_f16_e32 v25, v26, v25
	v_sub_f16_e32 v30, v24, v30
	v_add3_u32 v12, 0, v16, v12
	v_pack_b32_f16 v5, v17, v5
	v_pack_b32_f16 v16, v19, v21
	v_sub_f16_e32 v33, v18, v33
	v_sub_f16_e32 v23, v27, v23
	v_fma_f16 v26, v26, 2.0, -v25
	v_fma_f16 v24, v24, 2.0, -v30
	ds_write2_b32 v12, v5, v16 offset1:24
	v_pack_b32_f16 v5, v31, v20
	v_pack_b32_f16 v16, v29, v22
	v_fma_f16 v18, v18, 2.0, -v33
	v_fma_f16 v27, v27, 2.0, -v23
	ds_write2_b32 v12, v5, v16 offset0:48 offset1:72
	ds_write_b16 v15, v18 offset:416
	ds_write_b16 v15, v27 offset:418
	v_pack_b32_f16 v5, v26, v24
	v_pack_b32_f16 v12, v33, v23
	ds_write2_b32 v14, v5, v12 offset0:128 offset1:152
	v_pack_b32_f16 v5, v25, v30
	ds_write_b32 v14, v5 offset:704
	v_mov_b32_e32 v5, s13
	v_add_co_u32_e64 v8, s[0:1], s12, v8
	v_addc_co_u32_e64 v9, s[0:1], v5, v9, s[0:1]
	s_waitcnt lgkmcnt(0)
	s_barrier
	global_load_dword v5, v[8:9], off offset:360
	v_mov_b32_e32 v9, s13
	v_add_co_u32_e64 v8, s[0:1], s12, v10
	v_addc_co_u32_e64 v9, s[0:1], v9, v11, s[0:1]
	global_load_dword v12, v[8:9], off offset:424
	global_load_dword v22, v[8:9], off offset:488
	;; [unrolled: 1-line block ×5, first 2 shown]
	ds_read2_b32 v[8:9], v14 offset0:96 offset1:112
	ds_read2_b32 v[10:11], v15 offset0:16 offset1:32
	;; [unrolled: 1-line block ×5, first 2 shown]
	ds_read_b32 v13, v13
	ds_read_b32 v26, v15 offset:320
	s_waitcnt vmcnt(0) lgkmcnt(0)
	s_barrier
	v_pk_mul_f16 v27, v5, v8 op_sel:[0,1]
	v_pk_fma_f16 v28, v5, v8, v27 op_sel:[0,0,1] op_sel_hi:[1,1,0]
	v_pk_fma_f16 v5, v5, v8, v27 op_sel:[0,0,1] op_sel_hi:[1,0,0] neg_lo:[1,0,0] neg_hi:[1,0,0]
	v_bfi_b32 v5, s4, v28, v5
	v_pk_add_f16 v5, v13, v5 neg_lo:[0,1] neg_hi:[0,1]
	v_pk_fma_f16 v8, v13, 2.0, v5 op_sel_hi:[1,0,1] neg_lo:[0,0,1] neg_hi:[0,0,1]
	v_pk_mul_f16 v13, v12, v9 op_sel:[0,1]
	v_pk_fma_f16 v27, v12, v9, v13 op_sel:[0,0,1] op_sel_hi:[1,1,0]
	v_pk_fma_f16 v9, v12, v9, v13 op_sel:[0,0,1] op_sel_hi:[1,0,0] neg_lo:[1,0,0] neg_hi:[1,0,0]
	v_pk_mul_f16 v12, v22, v16 op_sel:[0,1]
	v_pk_fma_f16 v13, v22, v16, v12 op_sel:[0,0,1] op_sel_hi:[1,1,0]
	v_pk_fma_f16 v12, v22, v16, v12 op_sel:[0,0,1] op_sel_hi:[1,0,0] neg_lo:[1,0,0] neg_hi:[1,0,0]
	v_bfi_b32 v12, s4, v13, v12
	v_pk_mul_f16 v13, v23, v17 op_sel:[0,1]
	v_pk_fma_f16 v16, v23, v17, v13 op_sel:[0,0,1] op_sel_hi:[1,1,0]
	v_pk_fma_f16 v13, v23, v17, v13 op_sel:[0,0,1] op_sel_hi:[1,0,0] neg_lo:[1,0,0] neg_hi:[1,0,0]
	v_bfi_b32 v13, s4, v16, v13
	v_pk_add_f16 v13, v18, v13 neg_lo:[0,1] neg_hi:[0,1]
	v_pk_mul_f16 v17, v24, v20 op_sel:[0,1]
	v_pk_fma_f16 v16, v18, 2.0, v13 op_sel_hi:[1,0,1] neg_lo:[0,0,1] neg_hi:[0,0,1]
	v_pk_fma_f16 v18, v24, v20, v17 op_sel:[0,0,1] op_sel_hi:[1,1,0]
	v_pk_fma_f16 v17, v24, v20, v17 op_sel:[0,0,1] op_sel_hi:[1,0,0] neg_lo:[1,0,0] neg_hi:[1,0,0]
	v_bfi_b32 v17, s4, v18, v17
	v_pk_add_f16 v17, v19, v17 neg_lo:[0,1] neg_hi:[0,1]
	v_pk_fma_f16 v18, v19, 2.0, v17 op_sel_hi:[1,0,1] neg_lo:[0,0,1] neg_hi:[0,0,1]
	v_pk_mul_f16 v19, v21, v25 op_sel:[0,1]
	v_pk_fma_f16 v20, v21, v25, v19 op_sel:[0,0,1] op_sel_hi:[1,1,0]
	v_pk_fma_f16 v19, v21, v25, v19 op_sel:[0,0,1] op_sel_hi:[1,0,0] neg_lo:[0,0,1] neg_hi:[0,0,1]
	v_bfi_b32 v9, s4, v27, v9
	v_bfi_b32 v19, s4, v20, v19
	v_pk_add_f16 v9, v10, v9 neg_lo:[0,1] neg_hi:[0,1]
	v_pk_add_f16 v12, v11, v12 neg_lo:[0,1] neg_hi:[0,1]
	;; [unrolled: 1-line block ×3, first 2 shown]
	v_pk_fma_f16 v10, v10, 2.0, v9 op_sel_hi:[1,0,1] neg_lo:[0,0,1] neg_hi:[0,0,1]
	v_pk_fma_f16 v11, v11, 2.0, v12 op_sel_hi:[1,0,1] neg_lo:[0,0,1] neg_hi:[0,0,1]
	;; [unrolled: 1-line block ×3, first 2 shown]
	ds_write2_b32 v14, v8, v5 offset1:96
	ds_write2_b32 v15, v10, v11 offset0:16 offset1:32
	ds_write2_b32 v15, v12, v13 offset0:128 offset1:144
	;; [unrolled: 1-line block ×5, first 2 shown]
	s_waitcnt lgkmcnt(0)
	s_barrier
	s_and_saveexec_b64 s[0:1], vcc
	s_cbranch_execz .LBB0_21
; %bb.20:
	v_mul_lo_u32 v5, s3, v3
	v_mul_lo_u32 v8, s2, v4
	v_mad_u64_u32 v[3:4], s[0:1], s2, v3, 0
	v_lshl_add_u32 v11, v7, 2, v0
	v_mov_b32_e32 v0, s11
	v_add3_u32 v4, v4, v8, v5
	v_lshlrev_b64 v[3:4], 2, v[3:4]
	v_mov_b32_e32 v8, v6
	v_add_co_u32_e32 v3, vcc, s10, v3
	v_addc_co_u32_e32 v4, vcc, v0, v4, vcc
	v_lshlrev_b64 v[0:1], 2, v[1:2]
	ds_read2_b32 v[9:10], v11 offset1:16
	v_add_co_u32_e32 v12, vcc, v3, v0
	v_addc_co_u32_e32 v4, vcc, v4, v1, vcc
	v_lshlrev_b64 v[0:1], 2, v[7:8]
	v_add_u32_e32 v5, 16, v7
	v_add_co_u32_e32 v0, vcc, v12, v0
	v_addc_co_u32_e32 v1, vcc, v4, v1, vcc
	s_waitcnt lgkmcnt(0)
	global_store_dword v[0:1], v9, off
	v_lshlrev_b64 v[0:1], 2, v[5:6]
	v_add_u32_e32 v5, 32, v7
	v_add_co_u32_e32 v0, vcc, v12, v0
	v_addc_co_u32_e32 v1, vcc, v4, v1, vcc
	global_store_dword v[0:1], v10, off
	ds_read2_b32 v[0:1], v11 offset0:32 offset1:48
	v_lshlrev_b64 v[2:3], 2, v[5:6]
	v_add_u32_e32 v5, 48, v7
	v_add_co_u32_e32 v2, vcc, v12, v2
	v_addc_co_u32_e32 v3, vcc, v4, v3, vcc
	s_waitcnt lgkmcnt(0)
	global_store_dword v[2:3], v0, off
	v_lshlrev_b64 v[2:3], 2, v[5:6]
	v_add_u32_e32 v5, 64, v7
	v_add_co_u32_e32 v2, vcc, v12, v2
	v_addc_co_u32_e32 v3, vcc, v4, v3, vcc
	global_store_dword v[2:3], v1, off
	ds_read2_b32 v[0:1], v11 offset0:64 offset1:80
	;; [unrolled: 12-line block ×5, first 2 shown]
	v_lshlrev_b64 v[2:3], 2, v[5:6]
	v_add_u32_e32 v5, 0xb0, v7
	v_add_co_u32_e32 v2, vcc, v12, v2
	v_addc_co_u32_e32 v3, vcc, v4, v3, vcc
	s_waitcnt lgkmcnt(0)
	global_store_dword v[2:3], v0, off
	v_lshlrev_b64 v[2:3], 2, v[5:6]
	v_add_co_u32_e32 v2, vcc, v12, v2
	v_addc_co_u32_e32 v3, vcc, v4, v3, vcc
	global_store_dword v[2:3], v1, off
.LBB0_21:
	s_endpgm
	.section	.rodata,"a",@progbits
	.p2align	6, 0x0
	.amdhsa_kernel fft_rtc_back_len192_factors_6_4_4_2_wgs_128_tpt_16_halfLds_half_op_CI_CI_unitstride_sbrr_C2R_dirReg
		.amdhsa_group_segment_fixed_size 0
		.amdhsa_private_segment_fixed_size 0
		.amdhsa_kernarg_size 104
		.amdhsa_user_sgpr_count 6
		.amdhsa_user_sgpr_private_segment_buffer 1
		.amdhsa_user_sgpr_dispatch_ptr 0
		.amdhsa_user_sgpr_queue_ptr 0
		.amdhsa_user_sgpr_kernarg_segment_ptr 1
		.amdhsa_user_sgpr_dispatch_id 0
		.amdhsa_user_sgpr_flat_scratch_init 0
		.amdhsa_user_sgpr_private_segment_size 0
		.amdhsa_uses_dynamic_stack 0
		.amdhsa_system_sgpr_private_segment_wavefront_offset 0
		.amdhsa_system_sgpr_workgroup_id_x 1
		.amdhsa_system_sgpr_workgroup_id_y 0
		.amdhsa_system_sgpr_workgroup_id_z 0
		.amdhsa_system_sgpr_workgroup_info 0
		.amdhsa_system_vgpr_workitem_id 0
		.amdhsa_next_free_vgpr 45
		.amdhsa_next_free_sgpr 28
		.amdhsa_reserve_vcc 1
		.amdhsa_reserve_flat_scratch 0
		.amdhsa_float_round_mode_32 0
		.amdhsa_float_round_mode_16_64 0
		.amdhsa_float_denorm_mode_32 3
		.amdhsa_float_denorm_mode_16_64 3
		.amdhsa_dx10_clamp 1
		.amdhsa_ieee_mode 1
		.amdhsa_fp16_overflow 0
		.amdhsa_exception_fp_ieee_invalid_op 0
		.amdhsa_exception_fp_denorm_src 0
		.amdhsa_exception_fp_ieee_div_zero 0
		.amdhsa_exception_fp_ieee_overflow 0
		.amdhsa_exception_fp_ieee_underflow 0
		.amdhsa_exception_fp_ieee_inexact 0
		.amdhsa_exception_int_div_zero 0
	.end_amdhsa_kernel
	.text
.Lfunc_end0:
	.size	fft_rtc_back_len192_factors_6_4_4_2_wgs_128_tpt_16_halfLds_half_op_CI_CI_unitstride_sbrr_C2R_dirReg, .Lfunc_end0-fft_rtc_back_len192_factors_6_4_4_2_wgs_128_tpt_16_halfLds_half_op_CI_CI_unitstride_sbrr_C2R_dirReg
                                        ; -- End function
	.section	.AMDGPU.csdata,"",@progbits
; Kernel info:
; codeLenInByte = 6536
; NumSgprs: 32
; NumVgprs: 45
; ScratchSize: 0
; MemoryBound: 0
; FloatMode: 240
; IeeeMode: 1
; LDSByteSize: 0 bytes/workgroup (compile time only)
; SGPRBlocks: 3
; VGPRBlocks: 11
; NumSGPRsForWavesPerEU: 32
; NumVGPRsForWavesPerEU: 45
; Occupancy: 5
; WaveLimiterHint : 1
; COMPUTE_PGM_RSRC2:SCRATCH_EN: 0
; COMPUTE_PGM_RSRC2:USER_SGPR: 6
; COMPUTE_PGM_RSRC2:TRAP_HANDLER: 0
; COMPUTE_PGM_RSRC2:TGID_X_EN: 1
; COMPUTE_PGM_RSRC2:TGID_Y_EN: 0
; COMPUTE_PGM_RSRC2:TGID_Z_EN: 0
; COMPUTE_PGM_RSRC2:TIDIG_COMP_CNT: 0
	.type	__hip_cuid_54481842bfe5dc0d,@object ; @__hip_cuid_54481842bfe5dc0d
	.section	.bss,"aw",@nobits
	.globl	__hip_cuid_54481842bfe5dc0d
__hip_cuid_54481842bfe5dc0d:
	.byte	0                               ; 0x0
	.size	__hip_cuid_54481842bfe5dc0d, 1

	.ident	"AMD clang version 19.0.0git (https://github.com/RadeonOpenCompute/llvm-project roc-6.4.0 25133 c7fe45cf4b819c5991fe208aaa96edf142730f1d)"
	.section	".note.GNU-stack","",@progbits
	.addrsig
	.addrsig_sym __hip_cuid_54481842bfe5dc0d
	.amdgpu_metadata
---
amdhsa.kernels:
  - .args:
      - .actual_access:  read_only
        .address_space:  global
        .offset:         0
        .size:           8
        .value_kind:     global_buffer
      - .offset:         8
        .size:           8
        .value_kind:     by_value
      - .actual_access:  read_only
        .address_space:  global
        .offset:         16
        .size:           8
        .value_kind:     global_buffer
      - .actual_access:  read_only
        .address_space:  global
        .offset:         24
        .size:           8
        .value_kind:     global_buffer
      - .actual_access:  read_only
        .address_space:  global
        .offset:         32
        .size:           8
        .value_kind:     global_buffer
      - .offset:         40
        .size:           8
        .value_kind:     by_value
      - .actual_access:  read_only
        .address_space:  global
        .offset:         48
        .size:           8
        .value_kind:     global_buffer
      - .actual_access:  read_only
        .address_space:  global
        .offset:         56
        .size:           8
        .value_kind:     global_buffer
      - .offset:         64
        .size:           4
        .value_kind:     by_value
      - .actual_access:  read_only
        .address_space:  global
        .offset:         72
        .size:           8
        .value_kind:     global_buffer
      - .actual_access:  read_only
        .address_space:  global
        .offset:         80
        .size:           8
        .value_kind:     global_buffer
      - .actual_access:  read_only
        .address_space:  global
        .offset:         88
        .size:           8
        .value_kind:     global_buffer
      - .actual_access:  write_only
        .address_space:  global
        .offset:         96
        .size:           8
        .value_kind:     global_buffer
    .group_segment_fixed_size: 0
    .kernarg_segment_align: 8
    .kernarg_segment_size: 104
    .language:       OpenCL C
    .language_version:
      - 2
      - 0
    .max_flat_workgroup_size: 128
    .name:           fft_rtc_back_len192_factors_6_4_4_2_wgs_128_tpt_16_halfLds_half_op_CI_CI_unitstride_sbrr_C2R_dirReg
    .private_segment_fixed_size: 0
    .sgpr_count:     32
    .sgpr_spill_count: 0
    .symbol:         fft_rtc_back_len192_factors_6_4_4_2_wgs_128_tpt_16_halfLds_half_op_CI_CI_unitstride_sbrr_C2R_dirReg.kd
    .uniform_work_group_size: 1
    .uses_dynamic_stack: false
    .vgpr_count:     45
    .vgpr_spill_count: 0
    .wavefront_size: 64
amdhsa.target:   amdgcn-amd-amdhsa--gfx906
amdhsa.version:
  - 1
  - 2
...

	.end_amdgpu_metadata
